;; amdgpu-corpus repo=zjin-lcf/HeCBench kind=compiled arch=gfx1250 opt=O3
	.amdgcn_target "amdgcn-amd-amdhsa--gfx1250"
	.amdhsa_code_object_version 6
	.text
	.protected	_Z17compute_biclusterPKfiiifPcS1_PfPiS3_S1_S1_ ; -- Begin function _Z17compute_biclusterPKfiiifPcS1_PfPiS3_S1_S1_
	.globl	_Z17compute_biclusterPKfiiifPcS1_PfPiS3_S1_S1_
	.p2align	8
	.type	_Z17compute_biclusterPKfiiifPcS1_PfPiS3_S1_S1_,@function
_Z17compute_biclusterPKfiiifPcS1_PfPiS3_S1_S1_: ; @_Z17compute_biclusterPKfiiifPcS1_PfPiS3_S1_S1_
; %bb.0:
	s_clause 0x1
	s_load_b32 s2, s[0:1], 0x5c
	s_load_b128 s[4:7], s[0:1], 0x8
	s_bfe_u32 s3, ttmp6, 0x4000c
	s_and_b32 s8, ttmp6, 15
	s_add_co_i32 s3, s3, 1
	s_getreg_b32 s9, hwreg(HW_REG_IB_STS2, 6, 4)
	s_mul_i32 s3, ttmp9, s3
	s_delay_alu instid0(SALU_CYCLE_1) | instskip(SKIP_4) | instid1(SALU_CYCLE_1)
	s_add_co_i32 s8, s8, s3
	s_wait_kmcnt 0x0
	s_and_b32 s2, s2, 0xffff
	s_cmp_eq_u32 s9, 0
	s_cselect_b32 s3, ttmp9, s8
	v_mad_u32 v0, s3, s2, v0
	s_mov_b32 s2, exec_lo
	s_delay_alu instid0(VALU_DEP_1)
	v_cmpx_gt_i32_e64 s5, v0
	s_cbranch_execz .LBB0_137
; %bb.1:
	s_load_b128 s[16:19], s[0:1], 0x28
	v_dual_mov_b32 v1, 1.0 :: v_dual_add_nc_u32 v42, 1, v0
	v_mov_b32_e32 v44, 0
	s_wait_kmcnt 0x0
	s_clause 0x1
	global_store_b32 v0, v1, s[16:17] scale_offset
	global_store_b32 v0, v44, s[18:19] scale_offset
	v_cmp_gt_i32_e32 vcc_lo, s4, v42
	s_wait_xcnt 0x0
	s_and_b32 exec_lo, exec_lo, vcc_lo
	s_cbranch_execz .LBB0_137
; %bb.2:
	s_clause 0x1
	s_load_b64 s[2:3], s[0:1], 0x0
	s_load_b128 s[8:11], s[0:1], 0x18
	s_add_co_i32 s5, s6, 1
	v_mul_lo_u32 v4, v0, s4
	v_mul_lo_u32 v2, v0, s5
	s_cmp_gt_i32 s6, 0
	v_mul_lo_u32 v26, v0, s6
	s_cselect_b32 s22, -1, 0
	s_cmp_gt_i32 s4, 0
	v_mul_lo_u32 v16, v42, s5
	s_cselect_b32 s23, -1, 0
	s_cmp_lt_i32 s4, 1
	v_mov_b64_e32 v[28:29], 0x3030303030303030
	s_delay_alu instid0(VALU_DEP_4) | instskip(SKIP_2) | instid1(VALU_DEP_3)
	v_dual_add_nc_u32 v10, v4, v0 :: v_dual_add_nc_u32 v1, s6, v2
	v_dual_ashrrev_i32 v3, 31, v2 :: v_dual_ashrrev_i32 v5, 31, v4
	v_ashrrev_i32_e32 v27, 31, v26
	v_ashrrev_i32_e32 v11, 31, v10
	s_wait_kmcnt 0x0
	global_load_b32 v43, v1, s[2:3] scale_offset
	s_wait_xcnt 0x0
	v_ashrrev_i32_e32 v1, 31, v0
	s_clause 0x1
	s_load_b64 s[20:21], s[0:1], 0x48
	s_load_b128 s[12:15], s[0:1], 0x38
	v_lshl_add_u64 v[14:15], v[2:3], 2, s[2:3]
	v_add_nc_u64_e32 v[24:25], s[10:11], v[4:5]
	v_mov_b32_e32 v3, 48
	v_lshlrev_b64_e32 v[8:9], 2, v[0:1]
	s_delay_alu instid0(VALU_DEP_4) | instskip(NEXT) | instid1(VALU_DEP_2)
	v_add_nc_u64_e32 v[18:19], 4, v[14:15]
	v_add_nc_u64_e32 v[6:7], s[16:17], v[8:9]
	;; [unrolled: 1-line block ×3, first 2 shown]
	s_cselect_b32 s18, -1, 0
	s_cmp_lg_u32 s6, 1
	s_mov_b32 s17, 0
	s_cselect_b32 s19, -1, 0
	s_and_b32 s24, s6, 0x7ffffffe
	s_bitcmp1_b32 s6, 0
	s_wait_kmcnt 0x0
	v_add_nc_u64_e32 v[10:11], s[20:21], v[10:11]
	s_cselect_b32 s25, -1, 0
	s_cmp_gt_u32 s6, 7
	v_lshl_add_u64 v[12:13], v[0:1], 2, s[12:13]
	s_cselect_b32 s26, -1, 0
	s_and_b32 s27, s6, 0x7ffffff8
	v_add_nc_u64_e32 v[22:23], s[20:21], v[4:5]
	s_cmp_lg_u32 s6, s27
	v_mov_b32_e32 v1, 49
	s_cselect_b32 s28, -1, 0
	s_cmp_gt_u32 s4, 7
	v_add_nc_u64_e32 v[20:21], s[14:15], v[26:27]
	s_cselect_b32 s29, -1, 0
	s_and_b32 s30, s4, 0x7ffffff8
	v_add_nc_u64_e32 v[26:27], s[8:9], v[26:27]
	s_cmp_lg_u32 s4, s30
	s_add_nc_u64 s[8:9], s[2:3], 4
	s_cselect_b32 s14, -1, 0
	s_mov_b32 s15, 0
                                        ; implicit-def: $vgpr5
	s_branch .LBB0_4
.LBB0_3:                                ;   in Loop: Header=BB0_4 Depth=1
	v_dual_add_nc_u32 v42, 1, v42 :: v_dual_add_nc_u32 v16, s5, v16
	s_delay_alu instid0(VALU_DEP_1) | instskip(SKIP_1) | instid1(SALU_CYCLE_1)
	v_cmp_le_i32_e32 vcc_lo, s4, v42
	s_or_b32 s15, vcc_lo, s15
	s_and_not1_b32 exec_lo, exec_lo, s15
	s_cbranch_execz .LBB0_137
.LBB0_4:                                ; =>This Loop Header: Depth=1
                                        ;     Child Loop BB0_9 Depth 2
                                        ;     Child Loop BB0_48 Depth 2
                                        ;       Child Loop BB0_57 Depth 3
                                        ;       Child Loop BB0_61 Depth 3
                                        ;       Child Loop BB0_64 Depth 3
                                        ;       Child Loop BB0_66 Depth 3
                                        ;       Child Loop BB0_74 Depth 3
                                        ;       Child Loop BB0_78 Depth 3
                                        ;       Child Loop BB0_83 Depth 3
                                        ;       Child Loop BB0_88 Depth 3
                                        ;       Child Loop BB0_92 Depth 3
                                        ;         Child Loop BB0_95 Depth 4
                                        ;           Child Loop BB0_98 Depth 5
                                        ;           Child Loop BB0_102 Depth 5
	;; [unrolled: 1-line block ×4, first 2 shown]
                                        ;       Child Loop BB0_125 Depth 3
                                        ;       Child Loop BB0_129 Depth 3
	;; [unrolled: 1-line block ×4, first 2 shown]
	v_ashrrev_i32_e32 v17, 31, v16
	s_and_not1_b32 vcc_lo, exec_lo, s22
	s_delay_alu instid0(VALU_DEP_1)
	v_lshlrev_b64_e32 v[30:31], 2, v[16:17]
	s_cbranch_vccnz .LBB0_28
; %bb.5:                                ;   in Loop: Header=BB0_4 Depth=1
	v_mul_lo_u32 v37, v42, s5
	s_and_not1_b32 vcc_lo, exec_lo, s19
	s_delay_alu instid0(VALU_DEP_1)
	v_add_nc_u32_e32 v17, s6, v37
	s_wait_loadcnt 0x0
	global_load_b32 v36, v17, s[2:3] scale_offset
	s_cbranch_vccnz .LBB0_29
; %bb.6:                                ;   in Loop: Header=BB0_4 Depth=1
	v_add_nc_u64_e32 v[32:33], s[8:9], v[30:31]
	v_mov_b64_e32 v[34:35], v[18:19]
	s_wait_xcnt 0x0
	v_dual_mov_b32 v17, 0 :: v_dual_mov_b32 v46, 0
	v_mov_b32_e32 v45, 0
	s_mov_b32 s1, 0
	s_branch .LBB0_9
.LBB0_7:                                ;   in Loop: Header=BB0_9 Depth=2
	s_or_b32 exec_lo, exec_lo, s0
.LBB0_8:                                ;   in Loop: Header=BB0_9 Depth=2
	s_delay_alu instid0(SALU_CYCLE_1) | instskip(SKIP_3) | instid1(SALU_CYCLE_1)
	s_or_b32 exec_lo, exec_lo, s10
	v_add_nc_u64_e32 v[32:33], 8, v[32:33]
	v_add_nc_u64_e32 v[34:35], 8, v[34:35]
	s_add_co_i32 s1, s1, 2
	s_cmp_eq_u32 s24, s1
	s_cbranch_scc1 .LBB0_30
.LBB0_9:                                ;   Parent Loop BB0_4 Depth=1
                                        ; =>  This Inner Loop Header: Depth=2
	global_load_b32 v38, v[34:35], off offset:-4
	global_load_b32 v40, v[32:33], off offset:-4
	s_wait_loadcnt 0x0
	v_dual_sub_f32 v38, v38, v43 :: v_dual_sub_f32 v39, v40, v36
	s_delay_alu instid0(VALU_DEP_1) | instskip(NEXT) | instid1(VALU_DEP_2)
	v_cmp_le_f32_e32 vcc_lo, 0, v38
	v_cmp_le_f32_e64 s0, 0, v39
	s_and_b32 s0, vcc_lo, s0
	s_wait_xcnt 0x0
	s_and_saveexec_b32 s10, s0
	s_delay_alu instid0(SALU_CYCLE_1)
	s_xor_b32 s0, exec_lo, s10
	s_cbranch_execz .LBB0_11
; %bb.10:                               ;   in Loop: Header=BB0_9 Depth=2
	v_dual_mov_b32 v38, s1 :: v_dual_add_nc_u32 v17, 1, v17
                                        ; implicit-def: $vgpr40
                                        ; implicit-def: $vgpr39
	ds_store_b8 v38, v1 offset:1600
	ds_store_b8 v38, v3 offset:1603
	;; [unrolled: 1-line block ×3, first 2 shown]
                                        ; implicit-def: $vgpr38
.LBB0_11:                               ;   in Loop: Header=BB0_9 Depth=2
	s_and_not1_saveexec_b32 s10, s0
	s_cbranch_execz .LBB0_19
; %bb.12:                               ;   in Loop: Header=BB0_9 Depth=2
	v_cmp_ngt_f32_e32 vcc_lo, 0, v38
	v_cmp_nlt_f32_e64 s0, v40, v36
	s_or_b32 s0, vcc_lo, s0
	s_delay_alu instid0(SALU_CYCLE_1) | instskip(NEXT) | instid1(SALU_CYCLE_1)
	s_and_saveexec_b32 s11, s0
	s_xor_b32 s0, exec_lo, s11
	s_cbranch_execz .LBB0_16
; %bb.13:                               ;   in Loop: Header=BB0_9 Depth=2
	v_mul_f32_e32 v38, v38, v39
	s_mov_b32 s11, exec_lo
	s_delay_alu instid0(VALU_DEP_1)
	v_cmpx_gt_f32_e32 0, v38
	s_cbranch_execz .LBB0_15
; %bb.14:                               ;   in Loop: Header=BB0_9 Depth=2
	v_dual_mov_b32 v38, s1 :: v_dual_add_nc_u32 v46, 1, v46
	ds_store_b8 v38, v3 offset:1600
	ds_store_b8 v38, v3 offset:1603
	;; [unrolled: 1-line block ×3, first 2 shown]
.LBB0_15:                               ;   in Loop: Header=BB0_9 Depth=2
	s_or_b32 exec_lo, exec_lo, s11
.LBB0_16:                               ;   in Loop: Header=BB0_9 Depth=2
	s_and_not1_saveexec_b32 s0, s0
	s_cbranch_execz .LBB0_18
; %bb.17:                               ;   in Loop: Header=BB0_9 Depth=2
	v_dual_mov_b32 v38, s1 :: v_dual_add_nc_u32 v45, 1, v45
	ds_store_b8 v38, v3 offset:1600
	ds_store_b8 v38, v1 offset:1603
	;; [unrolled: 1-line block ×3, first 2 shown]
.LBB0_18:                               ;   in Loop: Header=BB0_9 Depth=2
	s_or_b32 exec_lo, exec_lo, s0
.LBB0_19:                               ;   in Loop: Header=BB0_9 Depth=2
	s_delay_alu instid0(SALU_CYCLE_1) | instskip(SKIP_4) | instid1(VALU_DEP_1)
	s_or_b32 exec_lo, exec_lo, s10
	global_load_b32 v38, v[34:35], off
	global_load_b32 v40, v[32:33], off
	s_wait_loadcnt 0x0
	v_dual_sub_f32 v38, v38, v43 :: v_dual_sub_f32 v39, v40, v36
	v_cmp_le_f32_e32 vcc_lo, 0, v38
	s_delay_alu instid0(VALU_DEP_2) | instskip(SKIP_3) | instid1(SALU_CYCLE_1)
	v_cmp_le_f32_e64 s0, 0, v39
	s_and_b32 s0, vcc_lo, s0
	s_wait_xcnt 0x0
	s_and_saveexec_b32 s10, s0
	s_xor_b32 s0, exec_lo, s10
	s_cbranch_execz .LBB0_21
; %bb.20:                               ;   in Loop: Header=BB0_9 Depth=2
	v_dual_mov_b32 v38, s1 :: v_dual_add_nc_u32 v17, 1, v17
                                        ; implicit-def: $vgpr40
                                        ; implicit-def: $vgpr39
	ds_store_b8 v38, v1 offset:1601
	ds_store_b8 v38, v3 offset:1604
	;; [unrolled: 1-line block ×3, first 2 shown]
                                        ; implicit-def: $vgpr38
.LBB0_21:                               ;   in Loop: Header=BB0_9 Depth=2
	s_and_not1_saveexec_b32 s10, s0
	s_cbranch_execz .LBB0_8
; %bb.22:                               ;   in Loop: Header=BB0_9 Depth=2
	v_cmp_ngt_f32_e32 vcc_lo, 0, v38
	v_cmp_nlt_f32_e64 s0, v40, v36
	s_or_b32 s0, vcc_lo, s0
	s_delay_alu instid0(SALU_CYCLE_1) | instskip(NEXT) | instid1(SALU_CYCLE_1)
	s_and_saveexec_b32 s11, s0
	s_xor_b32 s0, exec_lo, s11
	s_cbranch_execz .LBB0_26
; %bb.23:                               ;   in Loop: Header=BB0_9 Depth=2
	v_mul_f32_e32 v38, v38, v39
	s_mov_b32 s11, exec_lo
	s_delay_alu instid0(VALU_DEP_1)
	v_cmpx_gt_f32_e32 0, v38
	s_cbranch_execz .LBB0_25
; %bb.24:                               ;   in Loop: Header=BB0_9 Depth=2
	v_dual_mov_b32 v38, s1 :: v_dual_add_nc_u32 v46, 1, v46
	ds_store_b8 v38, v3 offset:1601
	ds_store_b8 v38, v3 offset:1604
	ds_store_b8 v38, v1 offset:1607
.LBB0_25:                               ;   in Loop: Header=BB0_9 Depth=2
	s_or_b32 exec_lo, exec_lo, s11
.LBB0_26:                               ;   in Loop: Header=BB0_9 Depth=2
	s_and_not1_saveexec_b32 s0, s0
	s_cbranch_execz .LBB0_7
; %bb.27:                               ;   in Loop: Header=BB0_9 Depth=2
	v_dual_mov_b32 v38, s1 :: v_dual_add_nc_u32 v45, 1, v45
	ds_store_b8 v38, v3 offset:1601
	ds_store_b8 v38, v1 offset:1604
	;; [unrolled: 1-line block ×3, first 2 shown]
	s_branch .LBB0_7
.LBB0_28:                               ;   in Loop: Header=BB0_4 Depth=1
	v_dual_mov_b32 v17, 0 :: v_dual_mov_b32 v46, 0
	v_mov_b32_e32 v45, 0
	s_branch .LBB0_42
.LBB0_29:                               ;   in Loop: Header=BB0_4 Depth=1
	v_dual_mov_b32 v45, 0 :: v_dual_mov_b32 v46, 0
	s_wait_xcnt 0x0
	v_mov_b32_e32 v17, 0
	s_mov_b32 s1, 0
	s_and_not1_b32 vcc_lo, exec_lo, s25
	s_cbranch_vccz .LBB0_31
	s_branch .LBB0_42
.LBB0_30:                               ;   in Loop: Header=BB0_4 Depth=1
	s_mov_b32 s1, s24
	s_and_not1_b32 vcc_lo, exec_lo, s25
	s_cbranch_vccnz .LBB0_42
.LBB0_31:                               ;   in Loop: Header=BB0_4 Depth=1
	v_dual_add_nc_u32 v32, s1, v2 :: v_dual_add_nc_u32 v33, s1, v37
	s_clause 0x1
	global_load_b32 v35, v32, s[2:3] scale_offset
	global_load_b32 v34, v33, s[2:3] scale_offset
	s_wait_loadcnt 0x0
	v_dual_sub_f32 v32, v35, v43 :: v_dual_sub_f32 v33, v34, v36
	s_delay_alu instid0(VALU_DEP_1) | instskip(NEXT) | instid1(VALU_DEP_2)
	v_cmp_le_f32_e32 vcc_lo, 0, v32
	v_cmp_le_f32_e64 s0, 0, v33
	s_and_b32 s0, vcc_lo, s0
	s_delay_alu instid0(SALU_CYCLE_1) | instskip(NEXT) | instid1(SALU_CYCLE_1)
	s_and_saveexec_b32 s10, s0
	s_xor_b32 s0, exec_lo, s10
	s_cbranch_execz .LBB0_33
; %bb.32:                               ;   in Loop: Header=BB0_4 Depth=1
	v_dual_mov_b32 v32, s1 :: v_dual_add_nc_u32 v17, 1, v17
                                        ; implicit-def: $vgpr34
                                        ; implicit-def: $vgpr36
                                        ; implicit-def: $vgpr33
	ds_store_b8 v32, v1 offset:1600
	ds_store_b8 v32, v3 offset:1603
	;; [unrolled: 1-line block ×3, first 2 shown]
                                        ; implicit-def: $vgpr32
.LBB0_33:                               ;   in Loop: Header=BB0_4 Depth=1
	s_and_not1_saveexec_b32 s10, s0
	s_cbranch_execz .LBB0_41
; %bb.34:                               ;   in Loop: Header=BB0_4 Depth=1
	v_cmp_ngt_f32_e32 vcc_lo, 0, v32
	v_cmp_nlt_f32_e64 s0, v34, v36
	s_or_b32 s0, vcc_lo, s0
	s_delay_alu instid0(SALU_CYCLE_1) | instskip(NEXT) | instid1(SALU_CYCLE_1)
	s_and_saveexec_b32 s11, s0
	s_xor_b32 s0, exec_lo, s11
	s_cbranch_execz .LBB0_38
; %bb.35:                               ;   in Loop: Header=BB0_4 Depth=1
	v_mul_f32_e32 v32, v32, v33
	s_mov_b32 s11, exec_lo
	s_delay_alu instid0(VALU_DEP_1)
	v_cmpx_gt_f32_e32 0, v32
	s_cbranch_execz .LBB0_37
; %bb.36:                               ;   in Loop: Header=BB0_4 Depth=1
	v_dual_mov_b32 v32, s1 :: v_dual_add_nc_u32 v46, 1, v46
	ds_store_b8 v32, v3 offset:1600
	ds_store_b8 v32, v3 offset:1603
	;; [unrolled: 1-line block ×3, first 2 shown]
.LBB0_37:                               ;   in Loop: Header=BB0_4 Depth=1
	s_or_b32 exec_lo, exec_lo, s11
.LBB0_38:                               ;   in Loop: Header=BB0_4 Depth=1
	s_and_not1_saveexec_b32 s0, s0
	s_cbranch_execz .LBB0_40
; %bb.39:                               ;   in Loop: Header=BB0_4 Depth=1
	v_dual_mov_b32 v32, s1 :: v_dual_add_nc_u32 v45, 1, v45
	ds_store_b8 v32, v3 offset:1600
	ds_store_b8 v32, v1 offset:1603
	;; [unrolled: 1-line block ×3, first 2 shown]
.LBB0_40:                               ;   in Loop: Header=BB0_4 Depth=1
	s_or_b32 exec_lo, exec_lo, s0
.LBB0_41:                               ;   in Loop: Header=BB0_4 Depth=1
	s_delay_alu instid0(SALU_CYCLE_1)
	s_or_b32 exec_lo, exec_lo, s10
.LBB0_42:                               ;   in Loop: Header=BB0_4 Depth=1
	v_add_nc_u32_e32 v32, v42, v4
	s_delay_alu instid0(VALU_DEP_4) | instskip(SKIP_2) | instid1(VALU_DEP_2)
	v_add_nc_u64_e32 v[30:31], s[2:3], v[30:31]
	s_mov_b32 s31, 0
	s_movk_i32 s33, 0x640
	v_ashrrev_i32_e32 v33, 31, v32
	s_delay_alu instid0(VALU_DEP_1)
	v_add_nc_u64_e32 v[32:33], s[20:21], v[32:33]
	s_branch .LBB0_48
.LBB0_43:                               ;   in Loop: Header=BB0_48 Depth=2
	v_mov_b32_e32 v44, v49
	global_store_b32 v[8:9], v49, off
	global_store_b32 v[12:13], v5, off
.LBB0_44:                               ;   in Loop: Header=BB0_48 Depth=2
	s_wait_xcnt 0x0
	s_or_b32 exec_lo, exec_lo, s1
.LBB0_45:                               ;   in Loop: Header=BB0_48 Depth=2
	s_delay_alu instid0(SALU_CYCLE_1)
	s_or_b32 exec_lo, exec_lo, s0
.LBB0_46:                               ;   in Loop: Header=BB0_48 Depth=2
	s_delay_alu instid0(SALU_CYCLE_1)
	s_or_b32 exec_lo, exec_lo, s35
.LBB0_47:                               ;   in Loop: Header=BB0_48 Depth=2
	s_delay_alu instid0(SALU_CYCLE_1)
	s_or_b32 exec_lo, exec_lo, s34
	s_add_co_i32 s31, s31, 1
	s_addk_co_i32 s33, 0xc8
	s_cmp_eq_u32 s31, 3
	s_cbranch_scc1 .LBB0_3
.LBB0_48:                               ;   Parent Loop BB0_4 Depth=1
                                        ; =>  This Loop Header: Depth=2
                                        ;       Child Loop BB0_57 Depth 3
                                        ;       Child Loop BB0_61 Depth 3
	;; [unrolled: 1-line block ×9, first 2 shown]
                                        ;         Child Loop BB0_95 Depth 4
                                        ;           Child Loop BB0_98 Depth 5
                                        ;           Child Loop BB0_102 Depth 5
	;; [unrolled: 1-line block ×4, first 2 shown]
                                        ;       Child Loop BB0_125 Depth 3
                                        ;       Child Loop BB0_129 Depth 3
	;; [unrolled: 1-line block ×4, first 2 shown]
	v_mov_b32_e32 v34, v17
	s_cmp_lt_i32 s31, 1
	s_cbranch_scc1 .LBB0_54
; %bb.49:                               ;   in Loop: Header=BB0_48 Depth=2
	s_cmp_lg_u32 s31, 1
	s_mov_b32 s0, -1
	s_cbranch_scc0 .LBB0_51
; %bb.50:                               ;   in Loop: Header=BB0_48 Depth=2
	s_mov_b32 s0, 0
.LBB0_51:                               ;   in Loop: Header=BB0_48 Depth=2
	s_delay_alu instid0(SALU_CYCLE_1)
	s_and_not1_b32 vcc_lo, exec_lo, s0
	s_cbranch_vccnz .LBB0_53
; %bb.52:                               ;   in Loop: Header=BB0_48 Depth=2
	v_mov_b32_e32 v5, v45
.LBB0_53:                               ;   in Loop: Header=BB0_48 Depth=2
	s_delay_alu instid0(VALU_DEP_1)
	v_mov_b32_e32 v34, v5
.LBB0_54:                               ;   in Loop: Header=BB0_48 Depth=2
	s_cmp_eq_u32 s31, 2
	s_mov_b32 s34, exec_lo
	s_cselect_b32 vcc_lo, -1, 0
	s_delay_alu instid0(VALU_DEP_1) | instskip(NEXT) | instid1(VALU_DEP_1)
	v_cndmask_b32_e32 v5, v34, v46, vcc_lo
	v_cmpx_lt_i32_e32 10, v5
	s_cbranch_execz .LBB0_47
; %bb.55:                               ;   in Loop: Header=BB0_48 Depth=2
	s_wait_loadcnt 0x0
	v_mov_b32_e32 v36, 0
	s_and_not1_b32 vcc_lo, exec_lo, s22
	s_cbranch_vccnz .LBB0_58
; %bb.56:                               ;   in Loop: Header=BB0_48 Depth=2
	v_mov_b64_e32 v[34:35], v[14:15]
	v_mov_b32_e32 v37, 0
	s_movk_i32 s0, 0x320
	s_mov_b32 s1, s6
	s_mov_b32 s10, s33
.LBB0_57:                               ;   Parent Loop BB0_4 Depth=1
                                        ;     Parent Loop BB0_48 Depth=2
                                        ; =>    This Inner Loop Header: Depth=3
	global_load_b32 v38, v[34:35], off
	v_dual_mov_b32 v39, s10 :: v_dual_mov_b32 v40, s0
	s_wait_xcnt 0x0
	v_add_nc_u64_e32 v[34:35], 4, v[34:35]
	s_add_co_i32 s1, s1, -1
	s_add_co_i32 s10, s10, 1
	ds_load_u8 v39, v39
	s_add_co_i32 s0, s0, 4
	s_cmp_lg_u32 s1, 0
	s_wait_dscnt 0x0
	v_cmp_eq_u32_e32 vcc_lo, 49, v39
	s_wait_loadcnt 0x0
	v_dual_add_f32 v41, v37, v38 :: v_dual_add_f32 v39, v36, v38
	ds_store_b32 v40, v38
	v_dual_cndmask_b32 v37, v37, v41 :: v_dual_cndmask_b32 v36, v39, v36
	s_cbranch_scc1 .LBB0_57
	s_branch .LBB0_59
.LBB0_58:                               ;   in Loop: Header=BB0_48 Depth=2
	v_mov_b32_e32 v37, 0
.LBB0_59:                               ;   in Loop: Header=BB0_48 Depth=2
	v_sub_nc_u32_e32 v34, s6, v5
	v_cvt_f32_u32_e32 v47, v5
	s_delay_alu instid0(VALU_DEP_2) | instskip(NEXT) | instid1(VALU_DEP_2)
	v_cvt_f32_i32_e32 v48, v34
	v_div_scale_f32 v34, null, v47, v47, v37
	v_div_scale_f32 v49, vcc_lo, v37, v47, v37
	s_delay_alu instid0(VALU_DEP_3) | instskip(NEXT) | instid1(VALU_DEP_3)
	v_div_scale_f32 v35, null, v48, v48, v36
	v_rcp_f32_e32 v38, v34
	s_delay_alu instid0(VALU_DEP_1) | instskip(NEXT) | instid1(TRANS32_DEP_2)
	v_rcp_f32_e32 v39, v35
	v_fma_f32 v40, -v34, v38, 1.0
	s_delay_alu instid0(TRANS32_DEP_1) | instskip(NEXT) | instid1(VALU_DEP_2)
	v_fma_f32 v41, -v35, v39, 1.0
	v_fmac_f32_e32 v38, v40, v38
	v_div_scale_f32 v40, s0, v36, v48, v36
	s_delay_alu instid0(VALU_DEP_3) | instskip(NEXT) | instid1(VALU_DEP_3)
	v_fmac_f32_e32 v39, v41, v39
	v_mul_f32_e32 v41, v49, v38
	s_delay_alu instid0(VALU_DEP_1) | instskip(NEXT) | instid1(VALU_DEP_1)
	v_dual_fma_f32 v51, -v34, v41, v49 :: v_dual_mul_f32 v50, v40, v39
	v_fmac_f32_e32 v41, v51, v38
	s_delay_alu instid0(VALU_DEP_1) | instskip(NEXT) | instid1(VALU_DEP_1)
	v_dual_fma_f32 v52, -v35, v50, v40 :: v_dual_fma_f32 v34, -v34, v41, v49
	v_fmac_f32_e32 v50, v52, v39
	s_delay_alu instid0(VALU_DEP_2) | instskip(NEXT) | instid1(VALU_DEP_2)
	v_div_fmas_f32 v34, v34, v38, v41
	v_fma_f32 v35, -v35, v50, v40
	s_mov_b32 vcc_lo, s0
	s_delay_alu instid0(VALU_DEP_1) | instskip(NEXT) | instid1(VALU_DEP_3)
	v_div_fmas_f32 v38, v35, v39, v50
	v_div_fixup_f32 v35, v34, v47, v37
	s_and_not1_b32 vcc_lo, exec_lo, s22
	s_delay_alu instid0(VALU_DEP_2)
	v_div_fixup_f32 v37, v38, v48, v36
	s_cbranch_vccnz .LBB0_68
; %bb.60:                               ;   in Loop: Header=BB0_48 Depth=2
	v_dual_mov_b32 v34, 0 :: v_dual_mov_b32 v36, 0
	s_mov_b32 s0, 0
	s_movk_i32 s1, 0x320
.LBB0_61:                               ;   Parent Loop BB0_4 Depth=1
                                        ;     Parent Loop BB0_48 Depth=2
                                        ; =>    This Inner Loop Header: Depth=3
	s_add_co_i32 s10, s33, s0
	s_delay_alu instid0(SALU_CYCLE_1)
	v_dual_mov_b32 v38, s1 :: v_dual_mov_b32 v39, s10
	s_add_co_i32 s0, s0, 1
	s_add_co_i32 s1, s1, 4
	s_cmp_eq_u32 s6, s0
	ds_load_b32 v38, v38
	ds_load_u8 v39, v39
	s_wait_dscnt 0x1
	v_dual_sub_f32 v40, v35, v38 :: v_dual_sub_f32 v38, v37, v38
	s_wait_dscnt 0x0
	v_cmp_eq_u32_e32 vcc_lo, 49, v39
	s_delay_alu instid0(VALU_DEP_2) | instskip(NEXT) | instid1(VALU_DEP_1)
	v_dual_fma_f32 v40, v40, v40, v36 :: v_dual_fma_f32 v38, v38, v38, v34
	v_dual_cndmask_b32 v36, v36, v40, vcc_lo :: v_dual_cndmask_b32 v34, v38, v34, vcc_lo
	s_cbranch_scc0 .LBB0_61
; %bb.62:                               ;   in Loop: Header=BB0_48 Depth=2
	s_delay_alu instid0(VALU_DEP_1) | instskip(SKIP_2) | instid1(VALU_DEP_1)
	v_dual_mul_f32 v38, 0x4f800000, v34 :: v_dual_mul_f32 v39, 0x4f800000, v36
	v_cmp_gt_f32_e32 vcc_lo, 0xf800000, v34
	v_cmp_gt_f32_e64 s0, 0xf800000, v36
	v_dual_cndmask_b32 v34, v34, v38, vcc_lo :: v_dual_cndmask_b32 v36, v36, v39, s0
	s_delay_alu instid0(VALU_DEP_1) | instskip(NEXT) | instid1(VALU_DEP_1)
	v_sqrt_f32_e32 v38, v34
	v_sqrt_f32_e32 v39, v36
	v_nop
	s_delay_alu instid0(TRANS32_DEP_1) | instskip(SKIP_1) | instid1(VALU_DEP_2)
	v_dual_add_nc_u32 v40, -1, v38 :: v_dual_add_nc_u32 v41, -1, v39
	v_dual_add_nc_u32 v49, 1, v38 :: v_dual_add_nc_u32 v50, 1, v39
	v_dual_fma_f32 v51, -v40, v38, v34 :: v_dual_fma_f32 v52, -v41, v39, v36
	s_delay_alu instid0(VALU_DEP_2) | instskip(NEXT) | instid1(VALU_DEP_2)
	v_dual_fma_f32 v53, -v49, v38, v34 :: v_dual_fma_f32 v54, -v50, v39, v36
	v_cmp_ge_f32_e64 s1, 0, v51
	s_delay_alu instid0(VALU_DEP_1) | instskip(NEXT) | instid1(VALU_DEP_4)
	v_cndmask_b32_e64 v38, v38, v40, s1
	v_cmp_ge_f32_e64 s1, 0, v52
	s_delay_alu instid0(VALU_DEP_1) | instskip(SKIP_1) | instid1(VALU_DEP_1)
	v_cndmask_b32_e64 v39, v39, v41, s1
	v_cmp_lt_f32_e64 s1, 0, v53
	v_cndmask_b32_e64 v38, v38, v49, s1
	v_cmp_lt_f32_e64 s1, 0, v54
	s_delay_alu instid0(VALU_DEP_1) | instskip(NEXT) | instid1(VALU_DEP_1)
	v_cndmask_b32_e64 v39, v39, v50, s1
	v_dual_mul_f32 v40, 0x37800000, v38 :: v_dual_mul_f32 v41, 0x37800000, v39
	s_delay_alu instid0(VALU_DEP_1) | instskip(SKIP_1) | instid1(VALU_DEP_1)
	v_cndmask_b32_e32 v38, v38, v40, vcc_lo
	v_cmp_class_f32_e64 vcc_lo, v34, 0x260
	v_dual_cndmask_b32 v39, v39, v41, s0 :: v_dual_cndmask_b32 v49, v38, v34, vcc_lo
	v_cmp_class_f32_e64 vcc_lo, v36, 0x260
	s_delay_alu instid0(VALU_DEP_1)
	v_dual_cndmask_b32 v50, v39, v36, vcc_lo :: v_dual_mov_b32 v36, 0
	s_and_not1_b32 vcc_lo, exec_lo, s22
	s_cbranch_vccnz .LBB0_69
.LBB0_63:                               ;   in Loop: Header=BB0_48 Depth=2
	v_mov_b64_e32 v[38:39], v[30:31]
	v_mov_b32_e32 v34, 0
	s_mov_b32 s0, 0
	s_mov_b32 s1, 0
.LBB0_64:                               ;   Parent Loop BB0_4 Depth=1
                                        ;     Parent Loop BB0_48 Depth=2
                                        ; =>    This Inner Loop Header: Depth=3
	global_load_b32 v40, v[38:39], off
	s_add_co_i32 s10, s33, s1
	s_wait_xcnt 0x0
	v_add_nc_u64_e32 v[38:39], 4, v[38:39]
	v_mov_b32_e32 v41, s10
	s_add_co_i32 s1, s1, 1
	v_mov_b32_e32 v52, s0
	s_add_co_i32 s0, s0, 4
	s_cmp_lg_u32 s6, s1
	s_wait_loadcnt 0x0
	v_add_f32_e32 v51, v34, v40
	ds_load_u8 v41, v41
	ds_store_b32 v52, v40
	s_wait_dscnt 0x1
	v_cmp_eq_u32_e32 vcc_lo, 49, v41
	v_dual_add_f32 v41, v36, v40 :: v_dual_cndmask_b32 v34, v34, v51
	s_delay_alu instid0(VALU_DEP_1)
	v_cndmask_b32_e32 v36, v41, v36, vcc_lo
	s_cbranch_scc1 .LBB0_64
; %bb.65:                               ;   in Loop: Header=BB0_48 Depth=2
	s_delay_alu instid0(VALU_DEP_2) | instskip(NEXT) | instid1(VALU_DEP_2)
	v_div_scale_f32 v38, null, v47, v47, v34
	v_div_scale_f32 v39, null, v48, v48, v36
	v_div_scale_f32 v53, vcc_lo, v34, v47, v34
	s_delay_alu instid0(VALU_DEP_3) | instskip(NEXT) | instid1(VALU_DEP_2)
	v_rcp_f32_e32 v41, v38
	v_rcp_f32_e32 v51, v39
	v_div_scale_f32 v54, s0, v36, v48, v36
	s_mov_b32 s1, 0
	s_delay_alu instid0(TRANS32_DEP_2) | instskip(NEXT) | instid1(TRANS32_DEP_1)
	v_fma_f32 v40, -v38, v41, 1.0
	v_fma_f32 v52, -v39, v51, 1.0
	s_delay_alu instid0(VALU_DEP_1) | instskip(NEXT) | instid1(VALU_DEP_1)
	v_fmac_f32_e32 v51, v52, v51
	v_dual_fmac_f32 v41, v40, v41 :: v_dual_mul_f32 v55, v54, v51
	s_delay_alu instid0(VALU_DEP_1) | instskip(NEXT) | instid1(VALU_DEP_1)
	v_dual_mul_f32 v52, v53, v41 :: v_dual_fma_f32 v56, -v39, v55, v54
	v_fma_f32 v40, -v38, v52, v53
	s_delay_alu instid0(VALU_DEP_1) | instskip(NEXT) | instid1(VALU_DEP_1)
	v_dual_fmac_f32 v52, v40, v41 :: v_dual_mov_b32 v40, 0
	v_dual_fmac_f32 v55, v56, v51 :: v_dual_fma_f32 v38, -v38, v52, v53
	s_delay_alu instid0(VALU_DEP_1) | instskip(NEXT) | instid1(VALU_DEP_2)
	v_fma_f32 v39, -v39, v55, v54
	v_div_fmas_f32 v52, v38, v41, v52
	s_mov_b32 vcc_lo, s0
	v_mov_b32_e32 v41, v40
	s_delay_alu instid0(VALU_DEP_3) | instskip(SKIP_3) | instid1(VALU_DEP_3)
	v_div_fmas_f32 v39, v39, v51, v55
	v_mov_b32_e32 v38, v40
	v_div_fixup_f32 v34, v52, v47, v34
	s_mov_b32 s0, 0
	v_div_fixup_f32 v36, v39, v48, v36
	v_mov_b32_e32 v39, v40
.LBB0_66:                               ;   Parent Loop BB0_4 Depth=1
                                        ;     Parent Loop BB0_48 Depth=2
                                        ; =>    This Inner Loop Header: Depth=3
	s_add_co_i32 s10, s33, s1
	s_delay_alu instid0(SALU_CYCLE_1)
	v_dual_mov_b32 v51, s0 :: v_dual_mov_b32 v54, s10
	s_add_co_i32 s1, s1, 1
	s_add_co_i32 s0, s0, 4
	s_cmp_lg_u32 s6, s1
	ds_load_2addr_b32 v[52:53], v51 offset1:200
	ds_load_u8 v51, v54
	s_wait_dscnt 0x1
	v_pk_add_f32 v[54:55], v[34:35], v[52:53] neg_lo:[0,1] neg_hi:[0,1]
	v_pk_add_f32 v[52:53], v[36:37], v[52:53] neg_lo:[0,1] neg_hi:[0,1]
	s_wait_dscnt 0x0
	v_and_b32_e32 v51, 0xffff, v51
	s_delay_alu instid0(VALU_DEP_3) | instskip(NEXT) | instid1(VALU_DEP_3)
	v_pk_fma_f32 v[54:55], v[54:55], v[54:55], v[40:41] op_sel_hi:[0,1,1]
	v_pk_fma_f32 v[52:53], v[52:53], v[52:53], v[38:39] op_sel_hi:[0,1,1]
	s_delay_alu instid0(VALU_DEP_3) | instskip(NEXT) | instid1(VALU_DEP_3)
	v_cmp_eq_u32_e32 vcc_lo, 49, v51
	v_dual_cndmask_b32 v40, v40, v54 :: v_dual_cndmask_b32 v41, v41, v55
	s_delay_alu instid0(VALU_DEP_3)
	v_dual_cndmask_b32 v38, v52, v38 :: v_dual_cndmask_b32 v39, v53, v39
	s_cbranch_scc1 .LBB0_66
; %bb.67:                               ;   in Loop: Header=BB0_48 Depth=2
	s_delay_alu instid0(VALU_DEP_1) | instskip(SKIP_2) | instid1(VALU_DEP_1)
	v_dual_mul_f32 v34, 0x4f800000, v40 :: v_dual_mul_f32 v35, 0x4f800000, v38
	v_cmp_gt_f32_e32 vcc_lo, 0xf800000, v40
	v_cmp_gt_f32_e64 s0, 0xf800000, v38
	v_dual_cndmask_b32 v34, v40, v34, vcc_lo :: v_dual_cndmask_b32 v35, v38, v35, s0
	s_delay_alu instid0(VALU_DEP_1) | instskip(NEXT) | instid1(VALU_DEP_1)
	v_sqrt_f32_e32 v36, v34
	v_sqrt_f32_e32 v37, v35
	v_nop
	s_delay_alu instid0(TRANS32_DEP_1) | instskip(SKIP_1) | instid1(VALU_DEP_2)
	v_dual_add_nc_u32 v38, -1, v36 :: v_dual_add_nc_u32 v40, -1, v37
	v_dual_add_nc_u32 v51, 1, v36 :: v_dual_add_nc_u32 v52, 1, v37
	v_dual_fma_f32 v53, -v38, v36, v34 :: v_dual_fma_f32 v54, -v40, v37, v35
	s_delay_alu instid0(VALU_DEP_2) | instskip(NEXT) | instid1(VALU_DEP_2)
	v_dual_fma_f32 v55, -v51, v36, v34 :: v_dual_fma_f32 v56, -v52, v37, v35
	v_cmp_ge_f32_e64 s1, 0, v53
	s_delay_alu instid0(VALU_DEP_1) | instskip(NEXT) | instid1(VALU_DEP_4)
	v_cndmask_b32_e64 v36, v36, v38, s1
	v_cmp_ge_f32_e64 s1, 0, v54
	s_delay_alu instid0(VALU_DEP_1) | instskip(SKIP_1) | instid1(VALU_DEP_1)
	v_cndmask_b32_e64 v37, v37, v40, s1
	v_cmp_lt_f32_e64 s1, 0, v55
	v_cndmask_b32_e64 v36, v36, v51, s1
	v_cmp_lt_f32_e64 s1, 0, v56
	s_delay_alu instid0(VALU_DEP_1) | instskip(NEXT) | instid1(VALU_DEP_3)
	v_cndmask_b32_e64 v37, v37, v52, s1
	v_mul_f32_e32 v38, 0x37800000, v36
	s_delay_alu instid0(VALU_DEP_2) | instskip(NEXT) | instid1(VALU_DEP_2)
	v_mul_f32_e32 v40, 0x37800000, v37
	v_cndmask_b32_e32 v36, v36, v38, vcc_lo
	v_cmp_class_f32_e64 vcc_lo, v34, 0x260
	s_delay_alu instid0(VALU_DEP_1) | instskip(SKIP_1) | instid1(VALU_DEP_2)
	v_dual_cndmask_b32 v37, v37, v40, s0 :: v_dual_cndmask_b32 v34, v36, v34, vcc_lo
	v_cmp_class_f32_e64 vcc_lo, v35, 0x260
	v_cndmask_b32_e32 v36, v37, v35, vcc_lo
	s_branch .LBB0_70
.LBB0_68:                               ;   in Loop: Header=BB0_48 Depth=2
	v_dual_mov_b32 v49, 0 :: v_dual_mov_b32 v50, 0
	v_mov_b32_e32 v36, 0
	s_and_not1_b32 vcc_lo, exec_lo, s22
	s_cbranch_vccz .LBB0_63
.LBB0_69:                               ;   in Loop: Header=BB0_48 Depth=2
	v_dual_mov_b32 v39, 0 :: v_dual_mov_b32 v34, 0
	v_mov_b32_e32 v41, 0
.LBB0_70:                               ;   in Loop: Header=BB0_48 Depth=2
	s_delay_alu instid0(VALU_DEP_2) | instskip(SKIP_1) | instid1(VALU_DEP_1)
	v_mul_f32_e32 v34, v50, v34
	s_mov_b32 s35, exec_lo
	v_div_scale_f32 v35, null, v34, v34, v41
	s_delay_alu instid0(VALU_DEP_1) | instskip(SKIP_1) | instid1(TRANS32_DEP_1)
	v_rcp_f32_e32 v37, v35
	v_nop
	v_fma_f32 v38, -v35, v37, 1.0
	s_delay_alu instid0(VALU_DEP_1) | instskip(SKIP_1) | instid1(VALU_DEP_1)
	v_fmac_f32_e32 v37, v38, v37
	v_div_scale_f32 v38, vcc_lo, v41, v34, v41
	v_mul_f32_e32 v40, v38, v37
	s_delay_alu instid0(VALU_DEP_1) | instskip(NEXT) | instid1(VALU_DEP_1)
	v_fma_f32 v50, -v35, v40, v38
	v_fmac_f32_e32 v40, v50, v37
	s_delay_alu instid0(VALU_DEP_1) | instskip(NEXT) | instid1(VALU_DEP_1)
	v_fma_f32 v35, -v35, v40, v38
	v_div_fmas_f32 v35, v35, v37, v40
	s_delay_alu instid0(VALU_DEP_1) | instskip(NEXT) | instid1(VALU_DEP_1)
	v_div_fixup_f32 v34, v35, v34, v41
	v_cmpx_lt_f32_e64 s7, |v34|
	s_cbranch_execz .LBB0_46
; %bb.71:                               ;   in Loop: Header=BB0_48 Depth=2
	s_and_not1_b32 vcc_lo, exec_lo, s22
	s_cbranch_vccnz .LBB0_79
; %bb.72:                               ;   in Loop: Header=BB0_48 Depth=2
	s_and_not1_b32 vcc_lo, exec_lo, s26
	s_cbranch_vccnz .LBB0_76
; %bb.73:                               ;   in Loop: Header=BB0_48 Depth=2
	v_mov_b64_e32 v[34:35], v[20:21]
	s_mov_b32 s0, 0
.LBB0_74:                               ;   Parent Loop BB0_4 Depth=1
                                        ;     Parent Loop BB0_48 Depth=2
                                        ; =>    This Inner Loop Header: Depth=3
	s_delay_alu instid0(SALU_CYCLE_1)
	s_add_co_i32 s1, s33, s0
	s_add_co_i32 s0, s0, 8
	v_mov_b32_e32 v37, s1
	s_mov_b32 s16, s27
	s_cmp_lg_u32 s27, s0
	s_mov_b32 s1, s28
	ds_load_b64 v[40:41], v37
	s_wait_dscnt 0x0
	global_store_b64 v[34:35], v[40:41], off
	s_wait_xcnt 0x0
	v_add_nc_u64_e32 v[34:35], 8, v[34:35]
	s_cbranch_scc1 .LBB0_74
; %bb.75:                               ;   in Loop: Header=BB0_48 Depth=2
	s_and_b32 vcc_lo, exec_lo, s1
	s_cbranch_vccnz .LBB0_77
	s_branch .LBB0_79
.LBB0_76:                               ;   in Loop: Header=BB0_48 Depth=2
	s_mov_b32 s16, 0
	s_cbranch_execz .LBB0_79
.LBB0_77:                               ;   in Loop: Header=BB0_48 Depth=2
	v_add_nc_u64_e32 v[34:35], s[16:17], v[20:21]
.LBB0_78:                               ;   Parent Loop BB0_4 Depth=1
                                        ;     Parent Loop BB0_48 Depth=2
                                        ; =>    This Inner Loop Header: Depth=3
	s_add_co_i32 s0, s33, s16
	s_add_co_i32 s16, s16, 1
	v_mov_b32_e32 v37, s0
	s_cmp_eq_u32 s6, s16
	ds_load_u8 v37, v37
	s_wait_dscnt 0x0
	global_store_b8 v[34:35], v37, off
	s_wait_xcnt 0x0
	v_add_nc_u64_e32 v[34:35], 1, v[34:35]
	s_cbranch_scc0 .LBB0_78
.LBB0_79:                               ;   in Loop: Header=BB0_48 Depth=2
	v_mul_f32_e32 v34, v49, v36
	s_mov_b32 s1, -1
	s_delay_alu instid0(VALU_DEP_1) | instskip(SKIP_1) | instid1(VALU_DEP_2)
	v_div_scale_f32 v35, null, v34, v34, v39
	v_div_scale_f32 v38, vcc_lo, v39, v34, v39
	v_rcp_f32_e32 v36, v35
	v_nop
	s_delay_alu instid0(TRANS32_DEP_1) | instskip(NEXT) | instid1(VALU_DEP_1)
	v_fma_f32 v37, -v35, v36, 1.0
	v_fmac_f32_e32 v36, v37, v36
	s_delay_alu instid0(VALU_DEP_1) | instskip(NEXT) | instid1(VALU_DEP_1)
	v_mul_f32_e32 v37, v38, v36
	v_fma_f32 v40, -v35, v37, v38
	s_delay_alu instid0(VALU_DEP_1) | instskip(NEXT) | instid1(VALU_DEP_1)
	v_fmac_f32_e32 v37, v40, v36
	v_fma_f32 v35, -v35, v37, v38
	s_delay_alu instid0(VALU_DEP_1) | instskip(SKIP_1) | instid1(VALU_DEP_1)
	v_div_fmas_f32 v35, v35, v36, v37
	s_and_b32 vcc_lo, exec_lo, s18
	v_div_fixup_f32 v34, v35, v34, v39
	s_delay_alu instid0(VALU_DEP_1)
	v_cmp_lt_f32_e64 s0, s7, |v34|
	s_cbranch_vccz .LBB0_81
; %bb.80:                               ;   in Loop: Header=BB0_48 Depth=2
	global_store_b8 v[10:11], v1, off
	s_mov_b32 s1, 0
	global_store_b8 v[32:33], v1, off
.LBB0_81:                               ;   in Loop: Header=BB0_48 Depth=2
	v_cndmask_b32_e64 v50, 0, 1, s0
	s_and_not1_b32 vcc_lo, exec_lo, s1
	s_cbranch_vccnz .LBB0_85
; %bb.82:                               ;   in Loop: Header=BB0_48 Depth=2
	v_mov_b64_e32 v[34:35], v[22:23]
	s_and_not1_b32 vcc_lo, exec_lo, s29
	s_mov_b32 s0, s30
	s_cbranch_vccnz .LBB0_86
.LBB0_83:                               ;   Parent Loop BB0_4 Depth=1
                                        ;     Parent Loop BB0_48 Depth=2
                                        ; =>    This Inner Loop Header: Depth=3
	global_store_b64 v[34:35], v[28:29], off
	s_wait_xcnt 0x0
	v_add_nc_u64_e32 v[34:35], 8, v[34:35]
	s_add_co_i32 s0, s0, -8
	s_mov_b32 s16, s30
	s_cmp_lg_u32 s0, 0
	s_mov_b32 s1, s14
	s_cbranch_scc1 .LBB0_83
; %bb.84:                               ;   in Loop: Header=BB0_48 Depth=2
	s_and_b32 vcc_lo, exec_lo, s1
	s_cbranch_vccnz .LBB0_87
	s_branch .LBB0_89
.LBB0_85:                               ;   in Loop: Header=BB0_48 Depth=2
	v_dual_mov_b32 v34, 1.0 :: v_dual_mov_b32 v49, 2
	s_branch .LBB0_121
.LBB0_86:                               ;   in Loop: Header=BB0_48 Depth=2
	s_mov_b32 s16, 0
	s_cbranch_execz .LBB0_89
.LBB0_87:                               ;   in Loop: Header=BB0_48 Depth=2
	v_add_nc_u64_e32 v[34:35], s[16:17], v[22:23]
	s_sub_co_i32 s0, s4, s16
.LBB0_88:                               ;   Parent Loop BB0_4 Depth=1
                                        ;     Parent Loop BB0_48 Depth=2
                                        ; =>    This Inner Loop Header: Depth=3
	global_store_b8 v[34:35], v3, off
	s_wait_xcnt 0x0
	v_add_nc_u64_e32 v[34:35], 1, v[34:35]
	s_add_co_i32 s0, s0, -1
	s_delay_alu instid0(SALU_CYCLE_1)
	s_cmp_lg_u32 s0, 0
	s_cbranch_scc1 .LBB0_88
.LBB0_89:                               ;   in Loop: Header=BB0_48 Depth=2
	v_dual_mov_b32 v51, 1 :: v_dual_mov_b32 v49, 2
	s_mov_b32 s10, 0
	s_mov_b32 s36, 0
	s_clause 0x1
	global_store_b8 v[10:11], v1, off
	global_store_b8 v[32:33], v1, off
	s_branch .LBB0_92
.LBB0_90:                               ;   in Loop: Header=BB0_92 Depth=3
	s_wait_xcnt 0x0
	s_or_b32 exec_lo, exec_lo, s0
.LBB0_91:                               ;   in Loop: Header=BB0_92 Depth=3
	s_delay_alu instid0(SALU_CYCLE_1)
	s_or_b32 exec_lo, exec_lo, s37
	s_add_co_i32 s36, s36, 1
	s_add_co_i32 s10, s10, s5
	s_cmp_lg_u32 s36, s4
	s_cbranch_scc0 .LBB0_120
.LBB0_92:                               ;   Parent Loop BB0_4 Depth=1
                                        ;     Parent Loop BB0_48 Depth=2
                                        ; =>    This Loop Header: Depth=3
                                        ;         Child Loop BB0_95 Depth 4
                                        ;           Child Loop BB0_98 Depth 5
                                        ;           Child Loop BB0_102 Depth 5
                                        ;           Child Loop BB0_105 Depth 5
                                        ;           Child Loop BB0_107 Depth 5
	v_cmp_ne_u32_e32 vcc_lo, s36, v42
	v_cmp_ne_u32_e64 s0, s36, v0
	s_and_b32 s0, vcc_lo, s0
	s_wait_xcnt 0x0
	s_and_saveexec_b32 s37, s0
	s_cbranch_execz .LBB0_91
; %bb.93:                               ;   in Loop: Header=BB0_92 Depth=3
	s_mov_b32 s11, s17
	v_dual_mov_b32 v52, 0 :: v_dual_mov_b32 v53, 0
	s_mov_b32 s38, 0
	s_lshl_b64 s[0:1], s[10:11], 2
	s_mov_b32 s16, s38
	s_add_nc_u64 s[12:13], s[2:3], s[0:1]
	s_mov_b32 s11, 0
	s_branch .LBB0_95
.LBB0_94:                               ;   in Loop: Header=BB0_95 Depth=4
	s_or_b32 exec_lo, exec_lo, s1
	s_delay_alu instid0(SALU_CYCLE_1) | instskip(NEXT) | instid1(SALU_CYCLE_1)
	s_and_b32 s0, exec_lo, s39
	s_or_b32 s38, s0, s38
	s_delay_alu instid0(SALU_CYCLE_1)
	s_and_not1_b32 exec_lo, exec_lo, s38
	s_cbranch_execz .LBB0_118
.LBB0_95:                               ;   Parent Loop BB0_4 Depth=1
                                        ;     Parent Loop BB0_48 Depth=2
                                        ;       Parent Loop BB0_92 Depth=3
                                        ; =>      This Loop Header: Depth=4
                                        ;           Child Loop BB0_98 Depth 5
                                        ;           Child Loop BB0_102 Depth 5
	;; [unrolled: 1-line block ×4, first 2 shown]
	v_add_nc_u32_e32 v34, s11, v4
	s_mov_b32 s39, -1
	s_mov_b32 s0, -1
	s_mov_b32 s40, exec_lo
	global_load_u8 v34, v34, s[20:21]
	s_wait_loadcnt 0x0
	v_cmpx_eq_u16_e32 49, v34
	s_cbranch_execz .LBB0_116
; %bb.96:                               ;   in Loop: Header=BB0_95 Depth=4
	s_and_not1_b32 vcc_lo, exec_lo, s22
	s_cbranch_vccnz .LBB0_99
; %bb.97:                               ;   in Loop: Header=BB0_95 Depth=4
	s_mov_b32 s43, 0
	s_mov_b32 s41, 0
	s_movk_i32 s44, 0x320
	s_mov_b64 s[0:1], s[12:13]
	s_mov_b32 s42, 0
.LBB0_98:                               ;   Parent Loop BB0_4 Depth=1
                                        ;     Parent Loop BB0_48 Depth=2
                                        ;       Parent Loop BB0_92 Depth=3
                                        ;         Parent Loop BB0_95 Depth=4
                                        ; =>        This Inner Loop Header: Depth=5
	s_add_co_i32 s45, s33, s43
	s_delay_alu instid0(SALU_CYCLE_1)
	v_dual_mov_b32 v35, s44 :: v_dual_mov_b32 v34, s45
	s_load_b32 s45, s[0:1], 0x0
	s_wait_xcnt 0x0
	s_add_nc_u64 s[0:1], s[0:1], 4
	ds_load_u8 v34, v34
	s_wait_kmcnt 0x0
	v_mov_b32_e32 v36, s45
	s_add_f32 s47, s42, s45
	s_add_f32 s45, s41, s45
	s_wait_dscnt 0x0
	v_readfirstlane_b32 s46, v34
	ds_store_b32 v35, v36
	s_cmp_eq_u32 s46, 49
	s_cselect_b32 s42, s47, s42
	s_cselect_b32 s41, s41, s45
	s_add_co_i32 s43, s43, 1
	s_add_co_i32 s44, s44, 4
	s_cmp_lg_u32 s6, s43
	s_cbranch_scc1 .LBB0_98
	s_branch .LBB0_100
.LBB0_99:                               ;   in Loop: Header=BB0_95 Depth=4
	s_mov_b32 s41, 0
	s_mov_b32 s42, 0
.LBB0_100:                              ;   in Loop: Header=BB0_95 Depth=4
	s_delay_alu instid0(SALU_CYCLE_1) | instskip(SKIP_2) | instid1(VALU_DEP_3)
	v_div_scale_f32 v34, null, v47, v47, s42
	v_div_scale_f32 v35, null, v48, v48, s41
	v_div_scale_f32 v40, vcc_lo, s42, v47, s42
	v_rcp_f32_e32 v36, v34
	s_delay_alu instid0(VALU_DEP_2) | instskip(NEXT) | instid1(TRANS32_DEP_2)
	v_rcp_f32_e32 v37, v35
	v_fma_f32 v38, -v34, v36, 1.0
	s_delay_alu instid0(TRANS32_DEP_1) | instskip(NEXT) | instid1(VALU_DEP_1)
	v_fma_f32 v39, -v35, v37, 1.0
	v_dual_fmac_f32 v36, v38, v36 :: v_dual_fmac_f32 v37, v39, v37
	v_div_scale_f32 v38, s0, s41, v48, s41
	s_delay_alu instid0(VALU_DEP_1) | instskip(NEXT) | instid1(VALU_DEP_1)
	v_dual_mul_f32 v39, v40, v36 :: v_dual_mul_f32 v41, v38, v37
	v_dual_fma_f32 v54, -v34, v39, v40 :: v_dual_fma_f32 v55, -v35, v41, v38
	s_delay_alu instid0(VALU_DEP_1) | instskip(NEXT) | instid1(VALU_DEP_1)
	v_dual_fmac_f32 v39, v54, v36 :: v_dual_fmac_f32 v41, v55, v37
	v_dual_fma_f32 v34, -v34, v39, v40 :: v_dual_fma_f32 v35, -v35, v41, v38
	s_delay_alu instid0(VALU_DEP_1) | instskip(SKIP_1) | instid1(VALU_DEP_2)
	v_div_fmas_f32 v34, v34, v36, v39
	s_mov_b32 vcc_lo, s0
	v_div_fmas_f32 v36, v35, v37, v41
	s_and_not1_b32 vcc_lo, exec_lo, s22
	s_delay_alu instid0(VALU_DEP_2) | instskip(NEXT) | instid1(VALU_DEP_2)
	v_div_fixup_f32 v35, v34, v47, s42
	v_div_fixup_f32 v37, v36, v48, s41
	s_cbranch_vccnz .LBB0_109
; %bb.101:                              ;   in Loop: Header=BB0_95 Depth=4
	v_dual_mov_b32 v34, 0 :: v_dual_mov_b32 v36, 0
	s_mov_b32 s0, 0
	s_movk_i32 s1, 0x320
.LBB0_102:                              ;   Parent Loop BB0_4 Depth=1
                                        ;     Parent Loop BB0_48 Depth=2
                                        ;       Parent Loop BB0_92 Depth=3
                                        ;         Parent Loop BB0_95 Depth=4
                                        ; =>        This Inner Loop Header: Depth=5
	s_add_co_i32 s41, s33, s0
	s_delay_alu instid0(SALU_CYCLE_1)
	v_dual_mov_b32 v38, s1 :: v_dual_mov_b32 v39, s41
	s_add_co_i32 s0, s0, 1
	s_add_co_i32 s1, s1, 4
	s_cmp_eq_u32 s6, s0
	ds_load_b32 v38, v38
	ds_load_u8 v39, v39
	s_wait_dscnt 0x1
	v_dual_sub_f32 v40, v35, v38 :: v_dual_sub_f32 v38, v37, v38
	s_wait_dscnt 0x0
	v_cmp_eq_u32_e32 vcc_lo, 49, v39
	s_delay_alu instid0(VALU_DEP_2) | instskip(NEXT) | instid1(VALU_DEP_1)
	v_dual_fma_f32 v40, v40, v40, v36 :: v_dual_fma_f32 v38, v38, v38, v34
	v_dual_cndmask_b32 v36, v36, v40, vcc_lo :: v_dual_cndmask_b32 v34, v38, v34, vcc_lo
	s_cbranch_scc0 .LBB0_102
; %bb.103:                              ;   in Loop: Header=BB0_95 Depth=4
	s_delay_alu instid0(VALU_DEP_1) | instskip(SKIP_2) | instid1(VALU_DEP_1)
	v_dual_mul_f32 v38, 0x4f800000, v34 :: v_dual_mul_f32 v39, 0x4f800000, v36
	v_cmp_gt_f32_e32 vcc_lo, 0xf800000, v34
	v_cmp_gt_f32_e64 s0, 0xf800000, v36
	v_dual_cndmask_b32 v34, v34, v38, vcc_lo :: v_dual_cndmask_b32 v36, v36, v39, s0
	s_delay_alu instid0(VALU_DEP_1) | instskip(NEXT) | instid1(VALU_DEP_1)
	v_sqrt_f32_e32 v38, v34
	v_sqrt_f32_e32 v39, v36
	v_nop
	s_delay_alu instid0(TRANS32_DEP_1) | instskip(SKIP_1) | instid1(VALU_DEP_2)
	v_dual_add_nc_u32 v40, -1, v38 :: v_dual_add_nc_u32 v41, -1, v39
	v_dual_add_nc_u32 v54, 1, v38 :: v_dual_add_nc_u32 v55, 1, v39
	v_dual_fma_f32 v56, -v40, v38, v34 :: v_dual_fma_f32 v57, -v41, v39, v36
	s_delay_alu instid0(VALU_DEP_2) | instskip(NEXT) | instid1(VALU_DEP_2)
	v_dual_fma_f32 v58, -v54, v38, v34 :: v_dual_fma_f32 v59, -v55, v39, v36
	v_cmp_ge_f32_e64 s1, 0, v56
	s_delay_alu instid0(VALU_DEP_1) | instskip(NEXT) | instid1(VALU_DEP_4)
	v_cndmask_b32_e64 v38, v38, v40, s1
	v_cmp_ge_f32_e64 s1, 0, v57
	s_delay_alu instid0(VALU_DEP_1) | instskip(SKIP_1) | instid1(VALU_DEP_1)
	v_cndmask_b32_e64 v39, v39, v41, s1
	v_cmp_lt_f32_e64 s1, 0, v58
	v_cndmask_b32_e64 v38, v38, v54, s1
	v_cmp_lt_f32_e64 s1, 0, v59
	s_delay_alu instid0(VALU_DEP_1) | instskip(NEXT) | instid1(VALU_DEP_1)
	v_cndmask_b32_e64 v39, v39, v55, s1
	v_dual_mul_f32 v40, 0x37800000, v38 :: v_dual_mul_f32 v41, 0x37800000, v39
	s_delay_alu instid0(VALU_DEP_1) | instskip(SKIP_1) | instid1(VALU_DEP_1)
	v_cndmask_b32_e32 v38, v38, v40, vcc_lo
	v_cmp_class_f32_e64 vcc_lo, v34, 0x260
	v_dual_cndmask_b32 v39, v39, v41, s0 :: v_dual_cndmask_b32 v54, v38, v34, vcc_lo
	v_cmp_class_f32_e64 vcc_lo, v36, 0x260
	s_delay_alu instid0(VALU_DEP_2)
	v_cndmask_b32_e32 v55, v39, v36, vcc_lo
	s_and_not1_b32 vcc_lo, exec_lo, s22
	s_cbranch_vccnz .LBB0_110
.LBB0_104:                              ;   in Loop: Header=BB0_95 Depth=4
	s_lshl_b64 s[0:1], s[16:17], 2
	s_mov_b32 s43, 0
	s_add_nc_u64 s[0:1], s[2:3], s[0:1]
	s_mov_b32 s44, 0
	s_mov_b32 s41, 0
	;; [unrolled: 1-line block ×3, first 2 shown]
.LBB0_105:                              ;   Parent Loop BB0_4 Depth=1
                                        ;     Parent Loop BB0_48 Depth=2
                                        ;       Parent Loop BB0_92 Depth=3
                                        ;         Parent Loop BB0_95 Depth=4
                                        ; =>        This Inner Loop Header: Depth=5
	s_add_co_i32 s45, s33, s44
	s_delay_alu instid0(SALU_CYCLE_1)
	v_dual_mov_b32 v36, s43 :: v_dual_mov_b32 v34, s45
	s_load_b32 s45, s[0:1], 0x0
	s_wait_xcnt 0x0
	s_add_nc_u64 s[0:1], s[0:1], 4
	ds_load_u8 v34, v34
	s_wait_kmcnt 0x0
	v_mov_b32_e32 v38, s45
	s_add_f32 s47, s42, s45
	s_add_f32 s45, s41, s45
	s_wait_dscnt 0x0
	v_readfirstlane_b32 s46, v34
	ds_store_b32 v36, v38
	s_cmp_eq_u32 s46, 49
	s_cselect_b32 s42, s47, s42
	s_cselect_b32 s41, s41, s45
	s_add_co_i32 s44, s44, 1
	s_add_co_i32 s43, s43, 4
	s_cmp_lg_u32 s6, s44
	s_cbranch_scc1 .LBB0_105
; %bb.106:                              ;   in Loop: Header=BB0_95 Depth=4
	v_div_scale_f32 v34, null, v47, v47, s42
	v_div_scale_f32 v36, null, v48, v48, s41
	v_div_scale_f32 v56, vcc_lo, s42, v47, s42
	s_delay_alu instid0(VALU_DEP_3) | instskip(NEXT) | instid1(VALU_DEP_2)
	v_rcp_f32_e32 v38, v34
	v_rcp_f32_e32 v39, v36
	v_div_scale_f32 v57, s0, s41, v48, s41
	s_mov_b32 s1, 0
	s_delay_alu instid0(TRANS32_DEP_2) | instskip(NEXT) | instid1(TRANS32_DEP_1)
	v_fma_f32 v40, -v34, v38, 1.0
	v_fma_f32 v41, -v36, v39, 1.0
	s_delay_alu instid0(VALU_DEP_1) | instskip(NEXT) | instid1(VALU_DEP_1)
	v_dual_fmac_f32 v38, v40, v38 :: v_dual_fmac_f32 v39, v41, v39
	v_dual_mul_f32 v41, v56, v38 :: v_dual_mul_f32 v58, v57, v39
	s_delay_alu instid0(VALU_DEP_1) | instskip(NEXT) | instid1(VALU_DEP_1)
	v_dual_fma_f32 v40, -v34, v41, v56 :: v_dual_fma_f32 v59, -v36, v58, v57
	v_dual_fmac_f32 v41, v40, v38 :: v_dual_fmac_f32 v58, v59, v39
	s_delay_alu instid0(VALU_DEP_1) | instskip(NEXT) | instid1(VALU_DEP_2)
	v_dual_mov_b32 v40, 0 :: v_dual_fma_f32 v34, -v34, v41, v56
	v_fma_f32 v36, -v36, v58, v57
	s_delay_alu instid0(VALU_DEP_2) | instskip(SKIP_1) | instid1(VALU_DEP_3)
	v_div_fmas_f32 v34, v34, v38, v41
	s_mov_b32 vcc_lo, s0
	v_dual_mov_b32 v41, v40 :: v_dual_mov_b32 v38, v40
	s_delay_alu instid0(VALU_DEP_3) | instskip(NEXT) | instid1(VALU_DEP_3)
	v_div_fmas_f32 v36, v36, v39, v58
	v_div_fixup_f32 v34, v34, v47, s42
	v_mov_b32_e32 v39, v40
	s_mov_b32 s0, 0
	s_delay_alu instid0(VALU_DEP_3)
	v_div_fixup_f32 v36, v36, v48, s41
.LBB0_107:                              ;   Parent Loop BB0_4 Depth=1
                                        ;     Parent Loop BB0_48 Depth=2
                                        ;       Parent Loop BB0_92 Depth=3
                                        ;         Parent Loop BB0_95 Depth=4
                                        ; =>        This Inner Loop Header: Depth=5
	s_add_co_i32 s41, s33, s1
	s_add_co_i32 s1, s1, 1
	v_mov_b32_e32 v56, s41
	ds_load_u8 v56, v56
	s_wait_dscnt 0x0
	v_and_b32_e32 v56, 0xffff, v56
	s_delay_alu instid0(VALU_DEP_1)
	v_cmp_eq_u32_e32 vcc_lo, 49, v56
	v_mov_b32_e32 v56, s0
	s_add_co_i32 s0, s0, 4
	s_cmp_lg_u32 s6, s1
	ds_load_2addr_b32 v[56:57], v56 offset1:200
	s_wait_dscnt 0x0
	v_pk_add_f32 v[58:59], v[34:35], v[56:57] neg_lo:[0,1] neg_hi:[0,1]
	v_pk_add_f32 v[56:57], v[36:37], v[56:57] neg_lo:[0,1] neg_hi:[0,1]
	s_delay_alu instid0(VALU_DEP_2) | instskip(NEXT) | instid1(VALU_DEP_2)
	v_pk_fma_f32 v[58:59], v[58:59], v[58:59], v[40:41] op_sel_hi:[0,1,1]
	v_pk_fma_f32 v[56:57], v[56:57], v[56:57], v[38:39] op_sel_hi:[0,1,1]
	s_delay_alu instid0(VALU_DEP_2) | instskip(NEXT) | instid1(VALU_DEP_2)
	v_dual_cndmask_b32 v40, v40, v58 :: v_dual_cndmask_b32 v41, v41, v59
	v_dual_cndmask_b32 v38, v56, v38 :: v_dual_cndmask_b32 v39, v57, v39
	s_cbranch_scc1 .LBB0_107
; %bb.108:                              ;   in Loop: Header=BB0_95 Depth=4
	s_delay_alu instid0(VALU_DEP_1) | instskip(SKIP_2) | instid1(VALU_DEP_1)
	v_dual_mul_f32 v34, 0x4f800000, v40 :: v_dual_mul_f32 v35, 0x4f800000, v38
	v_cmp_gt_f32_e32 vcc_lo, 0xf800000, v40
	v_cmp_gt_f32_e64 s0, 0xf800000, v38
	v_dual_cndmask_b32 v34, v40, v34, vcc_lo :: v_dual_cndmask_b32 v36, v38, v35, s0
	s_delay_alu instid0(VALU_DEP_1) | instskip(NEXT) | instid1(VALU_DEP_1)
	v_sqrt_f32_e32 v35, v34
	v_sqrt_f32_e32 v37, v36
	v_nop
	s_delay_alu instid0(TRANS32_DEP_1) | instskip(SKIP_1) | instid1(VALU_DEP_2)
	v_dual_add_nc_u32 v38, -1, v35 :: v_dual_add_nc_u32 v40, -1, v37
	v_dual_add_nc_u32 v56, 1, v35 :: v_dual_add_nc_u32 v57, 1, v37
	v_dual_fma_f32 v58, -v38, v35, v34 :: v_dual_fma_f32 v59, -v40, v37, v36
	s_delay_alu instid0(VALU_DEP_2) | instskip(NEXT) | instid1(VALU_DEP_2)
	v_dual_fma_f32 v60, -v56, v35, v34 :: v_dual_fma_f32 v61, -v57, v37, v36
	v_cmp_ge_f32_e64 s1, 0, v58
	s_delay_alu instid0(VALU_DEP_1) | instskip(NEXT) | instid1(VALU_DEP_4)
	v_cndmask_b32_e64 v35, v35, v38, s1
	v_cmp_ge_f32_e64 s1, 0, v59
	s_delay_alu instid0(VALU_DEP_1) | instskip(SKIP_1) | instid1(VALU_DEP_1)
	v_cndmask_b32_e64 v37, v37, v40, s1
	v_cmp_lt_f32_e64 s1, 0, v60
	v_cndmask_b32_e64 v35, v35, v56, s1
	v_cmp_lt_f32_e64 s1, 0, v61
	s_delay_alu instid0(VALU_DEP_1) | instskip(NEXT) | instid1(VALU_DEP_3)
	v_cndmask_b32_e64 v37, v37, v57, s1
	v_mul_f32_e32 v38, 0x37800000, v35
	s_delay_alu instid0(VALU_DEP_1) | instskip(SKIP_1) | instid1(VALU_DEP_1)
	v_dual_mul_f32 v40, 0x37800000, v37 :: v_dual_cndmask_b32 v35, v35, v38
	v_cmp_class_f32_e64 vcc_lo, v34, 0x260
	v_dual_cndmask_b32 v37, v37, v40, s0 :: v_dual_cndmask_b32 v35, v35, v34, vcc_lo
	v_cmp_class_f32_e64 vcc_lo, v36, 0x260
	s_delay_alu instid0(VALU_DEP_2)
	v_cndmask_b32_e32 v34, v37, v36, vcc_lo
	s_branch .LBB0_111
.LBB0_109:                              ;   in Loop: Header=BB0_95 Depth=4
	v_dual_mov_b32 v54, 0 :: v_dual_mov_b32 v55, 0
	s_and_not1_b32 vcc_lo, exec_lo, s22
	s_cbranch_vccz .LBB0_104
.LBB0_110:                              ;   in Loop: Header=BB0_95 Depth=4
	v_dual_mov_b32 v34, 0 :: v_dual_mov_b32 v39, 0
	v_dual_mov_b32 v35, 0 :: v_dual_mov_b32 v41, 0
.LBB0_111:                              ;   in Loop: Header=BB0_95 Depth=4
	s_delay_alu instid0(VALU_DEP_1) | instskip(SKIP_1) | instid1(VALU_DEP_1)
	v_mul_f32_e32 v35, v55, v35
	s_mov_b32 s1, 0
	v_div_scale_f32 v36, null, v35, v35, v41
	s_delay_alu instid0(VALU_DEP_1) | instskip(SKIP_1) | instid1(TRANS32_DEP_1)
	v_rcp_f32_e32 v37, v36
	v_nop
	v_fma_f32 v38, -v36, v37, 1.0
	s_delay_alu instid0(VALU_DEP_1) | instskip(SKIP_1) | instid1(VALU_DEP_1)
	v_fmac_f32_e32 v37, v38, v37
	v_div_scale_f32 v40, vcc_lo, v41, v35, v41
	v_mul_f32_e32 v38, v40, v37
	s_delay_alu instid0(VALU_DEP_1) | instskip(NEXT) | instid1(VALU_DEP_1)
	v_fma_f32 v55, -v36, v38, v40
	v_fmac_f32_e32 v38, v55, v37
	s_delay_alu instid0(VALU_DEP_1) | instskip(NEXT) | instid1(VALU_DEP_1)
	v_fma_f32 v36, -v36, v38, v40
	v_div_fmas_f32 v36, v36, v37, v38
	s_delay_alu instid0(VALU_DEP_1) | instskip(NEXT) | instid1(VALU_DEP_1)
	v_div_fixup_f32 v35, v36, v35, v41
	v_cmp_lt_f32_e64 s41, s7, |v35|
	v_mov_b32_e32 v35, 0
	s_and_saveexec_b32 s0, s41
	s_cbranch_execz .LBB0_115
; %bb.112:                              ;   in Loop: Header=BB0_95 Depth=4
	v_mul_f32_e32 v34, v54, v34
	s_mov_b32 s1, exec_lo
	s_delay_alu instid0(VALU_DEP_1) | instskip(NEXT) | instid1(VALU_DEP_1)
	v_div_scale_f32 v35, null, v34, v34, v39
	v_rcp_f32_e32 v36, v35
	v_nop
	s_delay_alu instid0(TRANS32_DEP_1) | instskip(NEXT) | instid1(VALU_DEP_1)
	v_fma_f32 v37, -v35, v36, 1.0
	v_fmac_f32_e32 v36, v37, v36
	v_div_scale_f32 v37, vcc_lo, v39, v34, v39
	s_delay_alu instid0(VALU_DEP_1) | instskip(NEXT) | instid1(VALU_DEP_1)
	v_mul_f32_e32 v38, v37, v36
	v_fma_f32 v40, -v35, v38, v37
	s_delay_alu instid0(VALU_DEP_1) | instskip(NEXT) | instid1(VALU_DEP_1)
	v_fmac_f32_e32 v38, v40, v36
	v_fma_f32 v35, -v35, v38, v37
	s_delay_alu instid0(VALU_DEP_1) | instskip(NEXT) | instid1(VALU_DEP_1)
	v_div_fmas_f32 v35, v35, v36, v38
	v_div_fixup_f32 v34, v35, v34, v39
	s_delay_alu instid0(VALU_DEP_1)
	v_cmpx_lt_f32_e64 s7, |v34|
; %bb.113:                              ;   in Loop: Header=BB0_95 Depth=4
	v_add_nc_u32_e32 v52, 1, v52
; %bb.114:                              ;   in Loop: Header=BB0_95 Depth=4
	s_or_b32 exec_lo, exec_lo, s1
	v_add_nc_u32_e32 v35, 1, v53
	s_mov_b32 s1, exec_lo
.LBB0_115:                              ;   in Loop: Header=BB0_95 Depth=4
	s_or_b32 exec_lo, exec_lo, s0
	s_delay_alu instid0(VALU_DEP_1)
	v_mov_b32_e32 v53, v35
	s_or_not1_b32 s0, s1, exec_lo
.LBB0_116:                              ;   in Loop: Header=BB0_95 Depth=4
	s_or_b32 exec_lo, exec_lo, s40
	s_and_saveexec_b32 s1, s0
	s_cbranch_execz .LBB0_94
; %bb.117:                              ;   in Loop: Header=BB0_95 Depth=4
	s_add_co_i32 s11, s11, 1
	s_add_co_i32 s16, s16, s5
	s_cmp_eq_u32 s11, s4
	s_cselect_b32 s0, -1, 0
	s_delay_alu instid0(SALU_CYCLE_1)
	s_or_not1_b32 s39, s0, exec_lo
	s_branch .LBB0_94
.LBB0_118:                              ;   in Loop: Header=BB0_92 Depth=3
	s_or_b32 exec_lo, exec_lo, s38
	s_delay_alu instid0(SALU_CYCLE_1)
	s_mov_b32 s0, exec_lo
	v_cmpx_lt_i32_e32 0, v53
	s_cbranch_execz .LBB0_90
; %bb.119:                              ;   in Loop: Header=BB0_92 Depth=3
	v_dual_add_nc_u32 v50, v52, v50 :: v_dual_add_nc_u32 v51, v53, v51
	v_dual_add_nc_u32 v34, s36, v4 :: v_dual_add_nc_u32 v49, 1, v49
	global_store_b8 v34, v1, s[20:21]
	s_branch .LBB0_90
.LBB0_120:                              ;   in Loop: Header=BB0_48 Depth=2
	v_cvt_f32_u32_e32 v34, v51
.LBB0_121:                              ;   in Loop: Header=BB0_48 Depth=2
	v_cvt_f32_i32_e32 v35, v50
	s_mov_b32 s0, exec_lo
	s_delay_alu instid0(VALU_DEP_1) | instskip(NEXT) | instid1(VALU_DEP_1)
	v_div_scale_f32 v36, null, v34, v34, v35
	v_rcp_f32_e32 v37, v36
	v_nop
	s_delay_alu instid0(TRANS32_DEP_1) | instskip(NEXT) | instid1(VALU_DEP_1)
	v_fma_f32 v38, -v36, v37, 1.0
	v_fmac_f32_e32 v37, v38, v37
	v_div_scale_f32 v38, vcc_lo, v35, v34, v35
	s_delay_alu instid0(VALU_DEP_1) | instskip(NEXT) | instid1(VALU_DEP_1)
	v_mul_f32_e32 v39, v38, v37
	v_fma_f32 v40, -v36, v39, v38
	s_delay_alu instid0(VALU_DEP_1) | instskip(NEXT) | instid1(VALU_DEP_1)
	v_fmac_f32_e32 v39, v40, v37
	v_fma_f32 v36, -v36, v39, v38
	s_delay_alu instid0(VALU_DEP_1) | instskip(NEXT) | instid1(VALU_DEP_1)
	v_div_fmas_f32 v36, v36, v37, v39
	v_div_fixup_f32 v34, v36, v34, v35
	s_wait_xcnt 0x0
	s_delay_alu instid0(VALU_DEP_1)
	v_cmpx_gt_f32_e32 0x3c23d70a, v34
	s_cbranch_execz .LBB0_45
; %bb.122:                              ;   in Loop: Header=BB0_48 Depth=2
	v_max_i32_e32 v35, 10, v44
	s_mov_b32 s1, exec_lo
	s_delay_alu instid0(VALU_DEP_1)
	v_cmpx_lt_i32_e64 v35, v49
	s_cbranch_execz .LBB0_44
; %bb.123:                              ;   in Loop: Header=BB0_48 Depth=2
	s_and_not1_b32 vcc_lo, exec_lo, s23
	global_store_b32 v[6:7], v34, off
	s_cbranch_vccnz .LBB0_130
; %bb.124:                              ;   in Loop: Header=BB0_48 Depth=2
	s_wait_xcnt 0x0
	v_mov_b64_e32 v[34:35], v[22:23]
	v_mov_b64_e32 v[36:37], v[24:25]
	s_and_not1_b32 vcc_lo, exec_lo, s29
	s_mov_b32 s10, s30
	s_cbranch_vccnz .LBB0_127
.LBB0_125:                              ;   Parent Loop BB0_4 Depth=1
                                        ;     Parent Loop BB0_48 Depth=2
                                        ; =>    This Inner Loop Header: Depth=3
	global_load_b64 v[38:39], v[34:35], off
	s_wait_xcnt 0x0
	v_add_nc_u64_e32 v[34:35], 8, v[34:35]
	s_add_co_i32 s10, s10, -8
	s_mov_b32 s16, s30
	s_cmp_lg_u32 s10, 0
	s_mov_b32 s11, s14
	s_wait_loadcnt 0x0
	global_store_b64 v[36:37], v[38:39], off
	s_wait_xcnt 0x0
	v_add_nc_u64_e32 v[36:37], 8, v[36:37]
	s_cbranch_scc1 .LBB0_125
; %bb.126:                              ;   in Loop: Header=BB0_48 Depth=2
	s_and_b32 vcc_lo, exec_lo, s11
	s_cbranch_vccnz .LBB0_128
	s_branch .LBB0_130
.LBB0_127:                              ;   in Loop: Header=BB0_48 Depth=2
	s_mov_b32 s16, 0
	s_cbranch_execz .LBB0_130
.LBB0_128:                              ;   in Loop: Header=BB0_48 Depth=2
	v_add_nc_u64_e32 v[34:35], s[16:17], v[22:23]
	v_add_nc_u64_e32 v[36:37], s[16:17], v[24:25]
	s_sub_co_i32 s10, s4, s16
.LBB0_129:                              ;   Parent Loop BB0_4 Depth=1
                                        ;     Parent Loop BB0_48 Depth=2
                                        ; =>    This Inner Loop Header: Depth=3
	global_load_u8 v38, v[34:35], off
	s_wait_xcnt 0x0
	v_add_nc_u64_e32 v[34:35], 1, v[34:35]
	s_add_co_i32 s10, s10, -1
	s_delay_alu instid0(SALU_CYCLE_1)
	s_cmp_eq_u32 s10, 0
	s_wait_loadcnt 0x0
	global_store_b8 v[36:37], v38, off
	s_wait_xcnt 0x0
	v_add_nc_u64_e32 v[36:37], 1, v[36:37]
	s_cbranch_scc0 .LBB0_129
.LBB0_130:                              ;   in Loop: Header=BB0_48 Depth=2
	s_and_not1_b32 vcc_lo, exec_lo, s22
	s_cbranch_vccnz .LBB0_43
; %bb.131:                              ;   in Loop: Header=BB0_48 Depth=2
	s_wait_xcnt 0x0
	v_mov_b64_e32 v[34:35], v[20:21]
	v_mov_b64_e32 v[36:37], v[26:27]
	s_and_not1_b32 vcc_lo, exec_lo, s26
	s_mov_b32 s10, s27
	s_cbranch_vccnz .LBB0_134
.LBB0_132:                              ;   Parent Loop BB0_4 Depth=1
                                        ;     Parent Loop BB0_48 Depth=2
                                        ; =>    This Inner Loop Header: Depth=3
	global_load_b64 v[38:39], v[34:35], off
	s_wait_xcnt 0x0
	v_add_nc_u64_e32 v[34:35], 8, v[34:35]
	s_add_co_i32 s10, s10, -8
	s_mov_b32 s16, s27
	s_cmp_lg_u32 s10, 0
	s_mov_b32 s11, s28
	s_wait_loadcnt 0x0
	global_store_b64 v[36:37], v[38:39], off
	s_wait_xcnt 0x0
	v_add_nc_u64_e32 v[36:37], 8, v[36:37]
	s_cbranch_scc1 .LBB0_132
; %bb.133:                              ;   in Loop: Header=BB0_48 Depth=2
	s_and_b32 vcc_lo, exec_lo, s11
	s_cbranch_vccz .LBB0_43
	s_branch .LBB0_135
.LBB0_134:                              ;   in Loop: Header=BB0_48 Depth=2
	s_mov_b32 s16, 0
	s_cbranch_execz .LBB0_43
.LBB0_135:                              ;   in Loop: Header=BB0_48 Depth=2
	v_add_nc_u64_e32 v[34:35], s[16:17], v[20:21]
	v_add_nc_u64_e32 v[36:37], s[16:17], v[26:27]
	s_sub_co_i32 s10, s6, s16
.LBB0_136:                              ;   Parent Loop BB0_4 Depth=1
                                        ;     Parent Loop BB0_48 Depth=2
                                        ; =>    This Inner Loop Header: Depth=3
	global_load_u8 v38, v[34:35], off
	s_wait_xcnt 0x0
	v_add_nc_u64_e32 v[34:35], 1, v[34:35]
	s_add_co_i32 s10, s10, -1
	s_delay_alu instid0(SALU_CYCLE_1)
	s_cmp_lg_u32 s10, 0
	s_wait_loadcnt 0x0
	global_store_b8 v[36:37], v38, off
	s_wait_xcnt 0x0
	v_add_nc_u64_e32 v[36:37], 1, v[36:37]
	s_cbranch_scc1 .LBB0_136
	s_branch .LBB0_43
.LBB0_137:
	s_endpgm
	.section	.rodata,"a",@progbits
	.p2align	6, 0x0
	.amdhsa_kernel _Z17compute_biclusterPKfiiifPcS1_PfPiS3_S1_S1_
		.amdhsa_group_segment_fixed_size 2200
		.amdhsa_private_segment_fixed_size 0
		.amdhsa_kernarg_size 336
		.amdhsa_user_sgpr_count 2
		.amdhsa_user_sgpr_dispatch_ptr 0
		.amdhsa_user_sgpr_queue_ptr 0
		.amdhsa_user_sgpr_kernarg_segment_ptr 1
		.amdhsa_user_sgpr_dispatch_id 0
		.amdhsa_user_sgpr_kernarg_preload_length 0
		.amdhsa_user_sgpr_kernarg_preload_offset 0
		.amdhsa_user_sgpr_private_segment_size 0
		.amdhsa_wavefront_size32 1
		.amdhsa_uses_dynamic_stack 0
		.amdhsa_enable_private_segment 0
		.amdhsa_system_sgpr_workgroup_id_x 1
		.amdhsa_system_sgpr_workgroup_id_y 0
		.amdhsa_system_sgpr_workgroup_id_z 0
		.amdhsa_system_sgpr_workgroup_info 0
		.amdhsa_system_vgpr_workitem_id 0
		.amdhsa_next_free_vgpr 62
		.amdhsa_next_free_sgpr 48
		.amdhsa_named_barrier_count 0
		.amdhsa_reserve_vcc 1
		.amdhsa_float_round_mode_32 0
		.amdhsa_float_round_mode_16_64 0
		.amdhsa_float_denorm_mode_32 3
		.amdhsa_float_denorm_mode_16_64 3
		.amdhsa_fp16_overflow 0
		.amdhsa_memory_ordered 1
		.amdhsa_forward_progress 1
		.amdhsa_inst_pref_size 50
		.amdhsa_round_robin_scheduling 0
		.amdhsa_exception_fp_ieee_invalid_op 0
		.amdhsa_exception_fp_denorm_src 0
		.amdhsa_exception_fp_ieee_div_zero 0
		.amdhsa_exception_fp_ieee_overflow 0
		.amdhsa_exception_fp_ieee_underflow 0
		.amdhsa_exception_fp_ieee_inexact 0
		.amdhsa_exception_int_div_zero 0
	.end_amdhsa_kernel
	.text
.Lfunc_end0:
	.size	_Z17compute_biclusterPKfiiifPcS1_PfPiS3_S1_S1_, .Lfunc_end0-_Z17compute_biclusterPKfiiifPcS1_PfPiS3_S1_S1_
                                        ; -- End function
	.set _Z17compute_biclusterPKfiiifPcS1_PfPiS3_S1_S1_.num_vgpr, 62
	.set _Z17compute_biclusterPKfiiifPcS1_PfPiS3_S1_S1_.num_agpr, 0
	.set _Z17compute_biclusterPKfiiifPcS1_PfPiS3_S1_S1_.numbered_sgpr, 48
	.set _Z17compute_biclusterPKfiiifPcS1_PfPiS3_S1_S1_.num_named_barrier, 0
	.set _Z17compute_biclusterPKfiiifPcS1_PfPiS3_S1_S1_.private_seg_size, 0
	.set _Z17compute_biclusterPKfiiifPcS1_PfPiS3_S1_S1_.uses_vcc, 1
	.set _Z17compute_biclusterPKfiiifPcS1_PfPiS3_S1_S1_.uses_flat_scratch, 0
	.set _Z17compute_biclusterPKfiiifPcS1_PfPiS3_S1_S1_.has_dyn_sized_stack, 0
	.set _Z17compute_biclusterPKfiiifPcS1_PfPiS3_S1_S1_.has_recursion, 0
	.set _Z17compute_biclusterPKfiiifPcS1_PfPiS3_S1_S1_.has_indirect_call, 0
	.section	.AMDGPU.csdata,"",@progbits
; Kernel info:
; codeLenInByte = 6368
; TotalNumSgprs: 50
; NumVgprs: 62
; ScratchSize: 0
; MemoryBound: 0
; FloatMode: 240
; IeeeMode: 1
; LDSByteSize: 2200 bytes/workgroup (compile time only)
; SGPRBlocks: 0
; VGPRBlocks: 3
; NumSGPRsForWavesPerEU: 50
; NumVGPRsForWavesPerEU: 62
; NamedBarCnt: 0
; Occupancy: 16
; WaveLimiterHint : 0
; COMPUTE_PGM_RSRC2:SCRATCH_EN: 0
; COMPUTE_PGM_RSRC2:USER_SGPR: 2
; COMPUTE_PGM_RSRC2:TRAP_HANDLER: 0
; COMPUTE_PGM_RSRC2:TGID_X_EN: 1
; COMPUTE_PGM_RSRC2:TGID_Y_EN: 0
; COMPUTE_PGM_RSRC2:TGID_Z_EN: 0
; COMPUTE_PGM_RSRC2:TIDIG_COMP_CNT: 0
	.text
	.p2alignl 7, 3214868480
	.fill 96, 4, 3214868480
	.section	.AMDGPU.gpr_maximums,"",@progbits
	.set amdgpu.max_num_vgpr, 0
	.set amdgpu.max_num_agpr, 0
	.set amdgpu.max_num_sgpr, 0
	.text
	.type	__hip_cuid_e2dd73a789678072,@object ; @__hip_cuid_e2dd73a789678072
	.section	.bss,"aw",@nobits
	.globl	__hip_cuid_e2dd73a789678072
__hip_cuid_e2dd73a789678072:
	.byte	0                               ; 0x0
	.size	__hip_cuid_e2dd73a789678072, 1

	.ident	"AMD clang version 22.0.0git (https://github.com/RadeonOpenCompute/llvm-project roc-7.2.4 26084 f58b06dce1f9c15707c5f808fd002e18c2accf7e)"
	.section	".note.GNU-stack","",@progbits
	.addrsig
	.addrsig_sym __hip_cuid_e2dd73a789678072
	.amdgpu_metadata
---
amdhsa.kernels:
  - .args:
      - .actual_access:  read_only
        .address_space:  global
        .offset:         0
        .size:           8
        .value_kind:     global_buffer
      - .offset:         8
        .size:           4
        .value_kind:     by_value
      - .offset:         12
        .size:           4
        .value_kind:     by_value
      - .offset:         16
        .size:           4
        .value_kind:     by_value
      - .offset:         20
        .size:           4
        .value_kind:     by_value
      - .actual_access:  write_only
        .address_space:  global
        .offset:         24
        .size:           8
        .value_kind:     global_buffer
      - .actual_access:  write_only
        .address_space:  global
        .offset:         32
        .size:           8
        .value_kind:     global_buffer
      - .actual_access:  write_only
        .address_space:  global
        .offset:         40
        .size:           8
        .value_kind:     global_buffer
      - .actual_access:  write_only
        .address_space:  global
        .offset:         48
        .size:           8
        .value_kind:     global_buffer
      - .actual_access:  write_only
        .address_space:  global
        .offset:         56
        .size:           8
        .value_kind:     global_buffer
      - .address_space:  global
        .offset:         64
        .size:           8
        .value_kind:     global_buffer
      - .address_space:  global
        .offset:         72
        .size:           8
        .value_kind:     global_buffer
      - .offset:         80
        .size:           4
        .value_kind:     hidden_block_count_x
      - .offset:         84
        .size:           4
        .value_kind:     hidden_block_count_y
      - .offset:         88
        .size:           4
        .value_kind:     hidden_block_count_z
      - .offset:         92
        .size:           2
        .value_kind:     hidden_group_size_x
      - .offset:         94
        .size:           2
        .value_kind:     hidden_group_size_y
      - .offset:         96
        .size:           2
        .value_kind:     hidden_group_size_z
      - .offset:         98
        .size:           2
        .value_kind:     hidden_remainder_x
      - .offset:         100
        .size:           2
        .value_kind:     hidden_remainder_y
      - .offset:         102
        .size:           2
        .value_kind:     hidden_remainder_z
      - .offset:         120
        .size:           8
        .value_kind:     hidden_global_offset_x
      - .offset:         128
        .size:           8
        .value_kind:     hidden_global_offset_y
      - .offset:         136
        .size:           8
        .value_kind:     hidden_global_offset_z
      - .offset:         144
        .size:           2
        .value_kind:     hidden_grid_dims
    .group_segment_fixed_size: 2200
    .kernarg_segment_align: 8
    .kernarg_segment_size: 336
    .language:       OpenCL C
    .language_version:
      - 2
      - 0
    .max_flat_workgroup_size: 1024
    .name:           _Z17compute_biclusterPKfiiifPcS1_PfPiS3_S1_S1_
    .private_segment_fixed_size: 0
    .sgpr_count:     50
    .sgpr_spill_count: 0
    .symbol:         _Z17compute_biclusterPKfiiifPcS1_PfPiS3_S1_S1_.kd
    .uniform_work_group_size: 1
    .uses_dynamic_stack: false
    .vgpr_count:     62
    .vgpr_spill_count: 0
    .wavefront_size: 32
amdhsa.target:   amdgcn-amd-amdhsa--gfx1250
amdhsa.version:
  - 1
  - 2
...

	.end_amdgpu_metadata
